;; amdgpu-corpus repo=ROCm/rocFFT kind=compiled arch=gfx950 opt=O3
	.text
	.amdgcn_target "amdgcn-amd-amdhsa--gfx950"
	.amdhsa_code_object_version 6
	.protected	fft_rtc_back_len80_factors_5_2_8_wgs_60_tpt_10_halfLds_sp_op_CI_CI_sbrr_dirReg ; -- Begin function fft_rtc_back_len80_factors_5_2_8_wgs_60_tpt_10_halfLds_sp_op_CI_CI_sbrr_dirReg
	.globl	fft_rtc_back_len80_factors_5_2_8_wgs_60_tpt_10_halfLds_sp_op_CI_CI_sbrr_dirReg
	.p2align	8
	.type	fft_rtc_back_len80_factors_5_2_8_wgs_60_tpt_10_halfLds_sp_op_CI_CI_sbrr_dirReg,@function
fft_rtc_back_len80_factors_5_2_8_wgs_60_tpt_10_halfLds_sp_op_CI_CI_sbrr_dirReg: ; @fft_rtc_back_len80_factors_5_2_8_wgs_60_tpt_10_halfLds_sp_op_CI_CI_sbrr_dirReg
; %bb.0:
	s_load_dwordx4 s[12:15], s[0:1], 0x18
	s_load_dwordx4 s[8:11], s[0:1], 0x0
	;; [unrolled: 1-line block ×3, first 2 shown]
	v_mul_u32_u24_e32 v1, 0x199a, v0
	v_lshrrev_b32_e32 v2, 16, v1
	s_waitcnt lgkmcnt(0)
	s_load_dwordx2 s[18:19], s[12:13], 0x0
	s_load_dwordx2 s[16:17], s[14:15], 0x0
	v_mad_u64_u32 v[6:7], s[2:3], s2, 6, v[2:3]
	v_mov_b32_e32 v8, 0
	v_mov_b32_e32 v7, v8
	v_cmp_lt_u64_e64 s[2:3], s[10:11], 2
	v_mov_b64_e32 v[10:11], 0
	s_and_b64 vcc, exec, s[2:3]
	v_mov_b64_e32 v[2:3], v[10:11]
	v_mov_b64_e32 v[4:5], v[6:7]
	s_cbranch_vccnz .LBB0_8
; %bb.1:
	s_load_dwordx2 s[2:3], s[0:1], 0x10
	s_add_u32 s20, s14, 8
	s_addc_u32 s21, s15, 0
	s_add_u32 s22, s12, 8
	s_addc_u32 s23, s13, 0
	s_waitcnt lgkmcnt(0)
	s_add_u32 s24, s2, 8
	v_mov_b64_e32 v[10:11], 0
	s_addc_u32 s25, s3, 0
	s_mov_b64 s[26:27], 1
	v_mov_b64_e32 v[2:3], v[10:11]
	v_mov_b64_e32 v[12:13], v[6:7]
.LBB0_2:                                ; =>This Inner Loop Header: Depth=1
	s_load_dwordx2 s[28:29], s[24:25], 0x0
                                        ; implicit-def: $vgpr4_vgpr5
	s_waitcnt lgkmcnt(0)
	v_or_b32_e32 v9, s29, v13
	v_cmp_ne_u64_e32 vcc, 0, v[8:9]
	s_and_saveexec_b64 s[2:3], vcc
	s_xor_b64 s[30:31], exec, s[2:3]
	s_cbranch_execz .LBB0_4
; %bb.3:                                ;   in Loop: Header=BB0_2 Depth=1
	v_cvt_f32_u32_e32 v1, s28
	v_cvt_f32_u32_e32 v4, s29
	s_sub_u32 s2, 0, s28
	s_subb_u32 s3, 0, s29
	v_fmac_f32_e32 v1, 0x4f800000, v4
	v_rcp_f32_e32 v1, v1
	s_nop 0
	v_mul_f32_e32 v1, 0x5f7ffffc, v1
	v_mul_f32_e32 v4, 0x2f800000, v1
	v_trunc_f32_e32 v4, v4
	v_fmac_f32_e32 v1, 0xcf800000, v4
	v_cvt_u32_f32_e32 v7, v4
	v_cvt_u32_f32_e32 v1, v1
	v_mul_lo_u32 v4, s2, v7
	v_mul_hi_u32 v9, s2, v1
	v_mul_lo_u32 v5, s3, v1
	v_add_u32_e32 v9, v9, v4
	v_mul_lo_u32 v16, s2, v1
	v_add_u32_e32 v9, v9, v5
	v_mul_hi_u32 v4, v1, v16
	v_mul_hi_u32 v15, v1, v9
	v_mul_lo_u32 v14, v1, v9
	v_mov_b32_e32 v5, v8
	v_lshl_add_u64 v[4:5], v[4:5], 0, v[14:15]
	v_mul_hi_u32 v15, v7, v16
	v_mul_lo_u32 v16, v7, v16
	v_add_co_u32_e32 v4, vcc, v4, v16
	v_mul_hi_u32 v14, v7, v9
	s_nop 0
	v_addc_co_u32_e32 v4, vcc, v5, v15, vcc
	v_mov_b32_e32 v5, v8
	s_nop 0
	v_addc_co_u32_e32 v15, vcc, 0, v14, vcc
	v_mul_lo_u32 v14, v7, v9
	v_lshl_add_u64 v[4:5], v[4:5], 0, v[14:15]
	v_add_co_u32_e32 v1, vcc, v1, v4
	v_mul_lo_u32 v14, s2, v1
	s_nop 0
	v_addc_co_u32_e32 v7, vcc, v7, v5, vcc
	v_mul_lo_u32 v4, s2, v7
	v_mul_hi_u32 v5, s2, v1
	v_add_u32_e32 v4, v5, v4
	v_mul_lo_u32 v5, s3, v1
	v_add_u32_e32 v9, v4, v5
	v_mul_hi_u32 v17, v7, v14
	v_mul_lo_u32 v18, v7, v14
	v_mul_hi_u32 v5, v1, v9
	v_mul_lo_u32 v4, v1, v9
	v_mul_hi_u32 v14, v1, v14
	v_mov_b32_e32 v15, v8
	v_lshl_add_u64 v[4:5], v[14:15], 0, v[4:5]
	v_add_co_u32_e32 v4, vcc, v4, v18
	v_mul_hi_u32 v16, v7, v9
	s_nop 0
	v_addc_co_u32_e32 v4, vcc, v5, v17, vcc
	v_mul_lo_u32 v14, v7, v9
	s_nop 0
	v_addc_co_u32_e32 v15, vcc, 0, v16, vcc
	v_mov_b32_e32 v5, v8
	v_lshl_add_u64 v[4:5], v[4:5], 0, v[14:15]
	v_add_co_u32_e32 v1, vcc, v1, v4
	v_mul_hi_u32 v14, v12, v1
	s_nop 0
	v_addc_co_u32_e32 v7, vcc, v7, v5, vcc
	v_mad_u64_u32 v[4:5], s[2:3], v12, v7, 0
	v_mov_b32_e32 v15, v8
	v_lshl_add_u64 v[4:5], v[14:15], 0, v[4:5]
	v_mad_u64_u32 v[16:17], s[2:3], v13, v1, 0
	v_add_co_u32_e32 v1, vcc, v4, v16
	v_mad_u64_u32 v[14:15], s[2:3], v13, v7, 0
	s_nop 0
	v_addc_co_u32_e32 v4, vcc, v5, v17, vcc
	v_mov_b32_e32 v5, v8
	s_nop 0
	v_addc_co_u32_e32 v15, vcc, 0, v15, vcc
	v_lshl_add_u64 v[4:5], v[4:5], 0, v[14:15]
	v_mul_lo_u32 v1, s29, v4
	v_mul_lo_u32 v7, s28, v5
	v_mad_u64_u32 v[14:15], s[2:3], s28, v4, 0
	v_add3_u32 v1, v15, v7, v1
	v_sub_u32_e32 v7, v13, v1
	v_mov_b32_e32 v9, s29
	v_sub_co_u32_e32 v18, vcc, v12, v14
	v_lshl_add_u64 v[16:17], v[4:5], 0, 1
	s_nop 0
	v_subb_co_u32_e64 v7, s[2:3], v7, v9, vcc
	v_subrev_co_u32_e64 v9, s[2:3], s28, v18
	v_subb_co_u32_e32 v1, vcc, v13, v1, vcc
	s_nop 0
	v_subbrev_co_u32_e64 v7, s[2:3], 0, v7, s[2:3]
	v_cmp_le_u32_e64 s[2:3], s29, v7
	v_cmp_le_u32_e32 vcc, s29, v1
	s_nop 0
	v_cndmask_b32_e64 v14, 0, -1, s[2:3]
	v_cmp_le_u32_e64 s[2:3], s28, v9
	s_nop 1
	v_cndmask_b32_e64 v9, 0, -1, s[2:3]
	v_cmp_eq_u32_e64 s[2:3], s29, v7
	s_nop 1
	v_cndmask_b32_e64 v7, v14, v9, s[2:3]
	v_lshl_add_u64 v[14:15], v[4:5], 0, 2
	v_cmp_ne_u32_e64 s[2:3], 0, v7
	v_cndmask_b32_e64 v9, 0, -1, vcc
	v_cmp_le_u32_e32 vcc, s28, v18
	v_cndmask_b32_e64 v7, v17, v15, s[2:3]
	s_nop 0
	v_cndmask_b32_e64 v15, 0, -1, vcc
	v_cmp_eq_u32_e32 vcc, s29, v1
	s_nop 1
	v_cndmask_b32_e32 v1, v9, v15, vcc
	v_cmp_ne_u32_e32 vcc, 0, v1
	v_cndmask_b32_e64 v1, v16, v14, s[2:3]
	s_nop 0
	v_cndmask_b32_e32 v5, v5, v7, vcc
	v_cndmask_b32_e32 v4, v4, v1, vcc
.LBB0_4:                                ;   in Loop: Header=BB0_2 Depth=1
	s_andn2_saveexec_b64 s[2:3], s[30:31]
	s_cbranch_execz .LBB0_6
; %bb.5:                                ;   in Loop: Header=BB0_2 Depth=1
	v_cvt_f32_u32_e32 v1, s28
	s_sub_i32 s30, 0, s28
	v_rcp_iflag_f32_e32 v1, v1
	s_nop 0
	v_mul_f32_e32 v1, 0x4f7ffffe, v1
	v_cvt_u32_f32_e32 v1, v1
	v_mul_lo_u32 v4, s30, v1
	v_mul_hi_u32 v4, v1, v4
	v_add_u32_e32 v1, v1, v4
	v_mul_hi_u32 v1, v12, v1
	v_mul_lo_u32 v4, v1, s28
	v_sub_u32_e32 v4, v12, v4
	v_add_u32_e32 v5, 1, v1
	v_subrev_u32_e32 v7, s28, v4
	v_cmp_le_u32_e32 vcc, s28, v4
	s_nop 1
	v_cndmask_b32_e32 v4, v4, v7, vcc
	v_cndmask_b32_e32 v1, v1, v5, vcc
	v_add_u32_e32 v5, 1, v1
	v_cmp_le_u32_e32 vcc, s28, v4
	s_nop 1
	v_cndmask_b32_e32 v4, v1, v5, vcc
	v_mov_b32_e32 v5, v8
.LBB0_6:                                ;   in Loop: Header=BB0_2 Depth=1
	s_or_b64 exec, exec, s[2:3]
	v_mad_u64_u32 v[14:15], s[2:3], v4, s28, 0
	s_load_dwordx2 s[2:3], s[22:23], 0x0
	s_add_u32 s26, s26, 1
	v_mul_lo_u32 v1, v5, s28
	v_mul_lo_u32 v7, v4, s29
	s_load_dwordx2 s[28:29], s[20:21], 0x0
	s_addc_u32 s27, s27, 0
	v_add3_u32 v1, v15, v7, v1
	v_sub_co_u32_e32 v7, vcc, v12, v14
	s_add_u32 s20, s20, 8
	s_nop 0
	v_subb_co_u32_e32 v1, vcc, v13, v1, vcc
	s_addc_u32 s21, s21, 0
	s_waitcnt lgkmcnt(0)
	v_mul_lo_u32 v9, s2, v1
	v_mul_lo_u32 v12, s3, v7
	v_mad_u64_u32 v[10:11], s[2:3], s2, v7, v[10:11]
	s_add_u32 s22, s22, 8
	v_add3_u32 v11, v12, v11, v9
	s_addc_u32 s23, s23, 0
	v_mov_b64_e32 v[12:13], s[10:11]
	v_mul_lo_u32 v1, s28, v1
	v_mul_lo_u32 v9, s29, v7
	v_mad_u64_u32 v[2:3], s[2:3], s28, v7, v[2:3]
	s_add_u32 s24, s24, 8
	v_cmp_ge_u64_e32 vcc, s[26:27], v[12:13]
	v_add3_u32 v3, v9, v3, v1
	s_addc_u32 s25, s25, 0
	s_cbranch_vccnz .LBB0_8
; %bb.7:                                ;   in Loop: Header=BB0_2 Depth=1
	v_mov_b64_e32 v[12:13], v[4:5]
	s_branch .LBB0_2
.LBB0_8:
	s_load_dwordx2 s[0:1], s[0:1], 0x28
	s_lshl_b64 s[20:21], s[10:11], 3
	s_add_u32 s2, s14, s20
	s_addc_u32 s3, s15, s21
                                        ; implicit-def: $sgpr14
                                        ; implicit-def: $vgpr30
	s_waitcnt lgkmcnt(0)
	v_cmp_gt_u64_e32 vcc, s[0:1], v[4:5]
	v_cmp_le_u64_e64 s[0:1], s[0:1], v[4:5]
	s_and_saveexec_b64 s[10:11], s[0:1]
	s_xor_b64 s[0:1], exec, s[10:11]
; %bb.9:
	s_mov_b32 s10, 0x1999999a
	v_mul_hi_u32 v1, v0, s10
	v_mul_u32_u24_e32 v1, 10, v1
	v_sub_u32_e32 v30, v0, v1
	s_mov_b32 s14, 0
                                        ; implicit-def: $vgpr0
                                        ; implicit-def: $vgpr10_vgpr11
; %bb.10:
	s_or_saveexec_b64 s[10:11], s[0:1]
	s_load_dwordx2 s[2:3], s[2:3], 0x0
	v_mov_b32_e32 v31, s14
                                        ; implicit-def: $vgpr28
                                        ; implicit-def: $vgpr26
                                        ; implicit-def: $vgpr8
                                        ; implicit-def: $vgpr14
                                        ; implicit-def: $vgpr20
                                        ; implicit-def: $vgpr18
                                        ; implicit-def: $vgpr12
                                        ; implicit-def: $vgpr24
                                        ; implicit-def: $vgpr1
                                        ; implicit-def: $vgpr22
                                        ; implicit-def: $vgpr16
	s_xor_b64 exec, exec, s[10:11]
	s_cbranch_execz .LBB0_14
; %bb.11:
	s_add_u32 s0, s12, s20
	s_addc_u32 s1, s13, s21
	s_load_dwordx2 s[0:1], s[0:1], 0x0
	s_mov_b32 s12, 0x1999999a
                                        ; implicit-def: $vgpr21
	s_waitcnt lgkmcnt(0)
	v_mul_lo_u32 v1, s1, v4
	v_mul_lo_u32 v7, s0, v5
	v_mad_u64_u32 v[8:9], s[0:1], s0, v4, 0
	v_add3_u32 v9, v9, v7, v1
	v_mul_hi_u32 v1, v0, s12
	v_mul_u32_u24_e32 v1, 10, v1
	v_sub_u32_e32 v30, v0, v1
	v_mad_u64_u32 v[0:1], s[0:1], s18, v30, 0
	v_mov_b32_e32 v12, v1
	v_mad_u64_u32 v[12:13], s[0:1], s19, v30, v[12:13]
	v_lshl_add_u64 v[8:9], v[8:9], 3, s[4:5]
	v_mov_b32_e32 v1, v12
	v_lshl_add_u64 v[10:11], v[10:11], 3, v[8:9]
	v_or_b32_e32 v7, 16, v30
	v_lshl_add_u64 v[8:9], v[0:1], 3, v[10:11]
	v_mad_u64_u32 v[0:1], s[0:1], s18, v7, 0
	v_mov_b32_e32 v12, v1
	v_mad_u64_u32 v[12:13], s[0:1], s19, v7, v[12:13]
	v_mov_b32_e32 v1, v12
	v_or_b32_e32 v7, 32, v30
	v_lshl_add_u64 v[12:13], v[0:1], 3, v[10:11]
	v_mad_u64_u32 v[0:1], s[0:1], s18, v7, 0
	v_mov_b32_e32 v14, v1
	v_mad_u64_u32 v[14:15], s[0:1], s19, v7, v[14:15]
	v_mov_b32_e32 v1, v14
	;; [unrolled: 6-line block ×3, first 2 shown]
	v_or_b32_e32 v7, 64, v30
	v_lshl_add_u64 v[18:19], v[0:1], 3, v[10:11]
	global_load_dwordx2 v[28:29], v[8:9], off
	global_load_dwordx2 v[14:15], v[12:13], off
	;; [unrolled: 1-line block ×4, first 2 shown]
	v_mad_u64_u32 v[8:9], s[0:1], s18, v7, 0
	v_mov_b32_e32 v12, v9
	v_mad_u64_u32 v[12:13], s[0:1], s19, v7, v[12:13]
	v_mov_b32_e32 v9, v12
	v_lshl_add_u64 v[8:9], v[8:9], 3, v[10:11]
	global_load_dwordx2 v[22:23], v[8:9], off
	v_cmp_gt_u32_e64 s[0:1], 6, v30
                                        ; implicit-def: $vgpr17
                                        ; implicit-def: $vgpr13
                                        ; implicit-def: $vgpr19
                                        ; implicit-def: $vgpr9
	s_and_saveexec_b64 s[4:5], s[0:1]
	s_cbranch_execz .LBB0_13
; %bb.12:
	v_add_u32_e32 v7, 10, v30
	v_mad_u64_u32 v[8:9], s[0:1], s18, v7, 0
	v_mov_b32_e32 v12, v9
	v_mad_u64_u32 v[12:13], s[0:1], s19, v7, v[12:13]
	v_mov_b32_e32 v9, v12
	v_add_u32_e32 v7, 26, v30
	v_lshl_add_u64 v[12:13], v[8:9], 3, v[10:11]
	v_mad_u64_u32 v[8:9], s[0:1], s18, v7, 0
	v_mov_b32_e32 v16, v9
	v_mad_u64_u32 v[16:17], s[0:1], s19, v7, v[16:17]
	v_mov_b32_e32 v9, v16
	v_add_u32_e32 v7, 42, v30
	v_lshl_add_u64 v[16:17], v[8:9], 3, v[10:11]
	;; [unrolled: 6-line block ×4, first 2 shown]
	global_load_dwordx2 v[8:9], v[12:13], off
	global_load_dwordx2 v[32:33], v[16:17], off
	;; [unrolled: 1-line block ×4, first 2 shown]
	v_mad_u64_u32 v[12:13], s[0:1], s18, v7, 0
	v_mov_b32_e32 v16, v13
	v_mad_u64_u32 v[16:17], s[0:1], s19, v7, v[16:17]
	v_mov_b32_e32 v13, v16
	v_lshl_add_u64 v[10:11], v[12:13], 3, v[10:11]
	global_load_dwordx2 v[12:13], v[10:11], off
	s_waitcnt vmcnt(4)
	v_mov_b32_e32 v20, v8
	s_waitcnt vmcnt(3)
	v_mov_b32_e32 v21, v33
	;; [unrolled: 2-line block ×4, first 2 shown]
	v_mov_b32_e32 v19, v34
	v_mov_b32_e32 v8, v32
.LBB0_13:
	s_or_b64 exec, exec, s[4:5]
	s_waitcnt vmcnt(3)
	v_mov_b32_e32 v26, v15
	v_mov_b32_e32 v31, v30
	;; [unrolled: 1-line block ×3, first 2 shown]
	s_waitcnt vmcnt(2)
	v_mov_b32_e32 v27, v25
	s_waitcnt vmcnt(1)
	v_mov_b32_e32 v25, v0
	;; [unrolled: 2-line block ×3, first 2 shown]
.LBB0_14:
	s_or_b64 exec, exec, s[10:11]
	s_mov_b32 s0, 0xaaaaaaab
	v_mul_hi_u32 v7, v6, s0
	v_lshrrev_b32_e32 v7, 2, v7
	v_mul_lo_u32 v7, v7, 6
	v_sub_u32_e32 v6, v6, v7
	s_mov_b32 s4, 0x3f737871
	v_mul_u32_u24_e32 v32, 0x50, v6
	v_add_f32_e32 v23, v25, v24
	v_pk_add_f32 v[6:7], v[26:27], v[0:1] neg_lo:[0,1] neg_hi:[0,1]
	s_mov_b32 s5, 0x3f167918
	v_pk_mul_f32 v[10:11], v[6:7], s[4:5]
	v_fma_f32 v33, -0.5, v23, v28
	v_sub_f32_e32 v23, v33, v10
	v_add_f32_e32 v10, v33, v10
	v_mov_b32_e32 v29, v22
	v_add_f32_e32 v41, v11, v10
	v_add_f32_e32 v10, v22, v14
	s_mov_b32 s0, s5
	s_mov_b32 s1, s4
	v_sub_f32_e32 v23, v23, v11
	v_pk_add_f32 v[36:37], v[28:29], v[14:15]
	v_fmac_f32_e32 v28, -0.5, v10
	v_pk_mul_f32 v[6:7], v[6:7], s[0:1]
	v_pk_add_f32 v[34:35], v[14:15], v[24:25] neg_lo:[0,1] neg_hi:[0,1]
	v_pk_add_f32 v[38:39], v[22:23], v[24:25] op_sel_hi:[0,1] neg_lo:[0,1] neg_hi:[0,1]
	v_add_f32_e32 v10, v7, v28
	v_sub_f32_e32 v7, v28, v7
	v_mov_b32_e32 v37, v39
	v_sub_f32_e32 v38, v10, v6
	v_mov_b32_e32 v10, v14
	v_mov_b32_e32 v11, v22
	v_add_f32_e32 v39, v6, v7
	v_mov_b32_e32 v6, v24
	v_mov_b32_e32 v7, v34
	v_pk_add_f32 v[10:11], v[24:25], v[10:11] neg_lo:[0,1] neg_hi:[0,1]
	v_pk_add_f32 v[34:35], v[36:37], v[6:7]
	v_mov_b32_e32 v7, 0x3e9e377a
	v_mov_b32_e32 v6, v25
	v_add_f32_e32 v10, v10, v11
	v_pk_add_f32 v[36:37], v[34:35], v[6:7]
	v_pk_mul_f32 v[34:35], v[34:35], v[6:7]
	v_mul_f32_e32 v40, 0x3e9e377a, v10
	v_mad_u32_u24 v33, v30, 20, 0
	v_mov_b32_e32 v37, v35
	v_mov_b32_e32 v10, v17
	;; [unrolled: 1-line block ×3, first 2 shown]
	v_lshl_add_u32 v29, v32, 2, v33
	v_pk_add_f32 v[36:37], v[36:37], v[22:23]
	v_add_f32_e32 v6, v35, v41
	v_pk_add_f32 v[34:35], v[40:41], v[38:39] op_sel_hi:[0,1]
	v_cmp_gt_u32_e64 s[0:1], 6, v30
	ds_write2_b32 v29, v36, v37 offset1:1
	ds_write2_b32 v29, v34, v35 offset0:2 offset1:3
	ds_write_b32 v29, v6 offset:16
	s_and_saveexec_b64 s[10:11], s[0:1]
	s_cbranch_execz .LBB0_16
; %bb.15:
	v_mov_b32_e32 v34, v12
	v_mov_b32_e32 v35, v8
	v_pk_add_f32 v[34:35], v[18:19], v[34:35] neg_lo:[0,1] neg_hi:[0,1]
	v_mov_b32_e32 v23, v8
	v_add_f32_e32 v6, v34, v35
	v_mul_f32_e32 v28, 0x3e9e377a, v6
	v_add_f32_e32 v6, v8, v12
	v_mul_f32_e32 v34, 0.5, v6
	v_pk_add_f32 v[40:41], v[22:23], v[18:19] neg_lo:[0,1] neg_hi:[0,1]
	v_pk_add_f32 v[42:43], v[12:13], v[18:19] neg_lo:[0,1] neg_hi:[0,1]
	v_pk_add_f32 v[44:45], v[20:21], v[8:9]
	v_mov_b32_e32 v35, v13
	v_pk_add_f32 v[36:37], v[10:11], v[16:17] neg_lo:[0,1] neg_hi:[0,1]
	v_add_f32_e32 v6, v18, v19
	v_mov_b32_e32 v11, v20
	v_mov_b32_e32 v45, v42
	;; [unrolled: 1-line block ×3, first 2 shown]
	v_pk_add_f32 v[34:35], v[20:21], v[34:35] neg_lo:[0,1] neg_hi:[0,1]
	v_fmac_f32_e32 v11, -0.5, v6
	v_pk_add_f32 v[40:41], v[44:45], v[40:41]
	v_mov_b32_e32 v6, v18
	v_pk_mul_f32 v[46:47], v[34:35], s[4:5]
	v_mul_f32_e32 v38, 0x3f737871, v36
	v_pk_add_f32 v[42:43], v[18:19], v[40:41]
	v_pk_mul_f32 v[6:7], v[6:7], v[40:41]
	v_fmamk_f32 v41, v36, 0xbf737871, v34
	v_mov_b32_e32 v39, 0x3f167918
	v_mov_b32_e32 v40, v47
	v_pk_add_f32 v[44:45], v[34:35], v[38:39]
	v_pk_fma_f32 v[38:39], v[34:35], v[38:39], v[40:41]
	v_mov_b32_e32 v34, v35
	v_mov_b32_e32 v35, v36
	v_pk_mul_f32 v[34:35], v[34:35], s[4:5]
	v_mov_b32_e32 v43, v7
	v_add_f32_e32 v6, v34, v11
	v_sub_f32_e32 v11, v11, v34
	v_pk_add_f32 v[44:45], v[44:45], v[40:41] neg_lo:[0,1] neg_hi:[0,1]
	v_add_f32_e32 v6, v35, v6
	v_sub_f32_e32 v35, v11, v35
	v_mov_b32_e32 v34, v12
	v_mov_b32_e32 v45, v39
	v_add_f32_e32 v11, v7, v6
	v_pk_add_f32 v[6:7], v[34:35], v[42:43]
	v_pk_add_f32 v[38:39], v[28:29], v[44:45] op_sel_hi:[0,1]
	ds_write2_b32 v29, v6, v7 offset0:50 offset1:51
	ds_write2_b32 v29, v38, v39 offset0:52 offset1:53
	ds_write_b32 v29, v11 offset:216
.LBB0_16:
	s_or_b64 exec, exec, s[10:11]
	v_pk_add_f32 v[6:7], v[26:27], v[0:1]
	v_mov_b32_e32 v34, v26
	v_mul_f32_e32 v35, 0.5, v7
	v_mul_f32_e32 v23, 0.5, v6
	v_pk_add_f32 v[38:39], v[14:15], v[26:27] op_sel:[1,0]
	v_pk_add_f32 v[34:35], v[14:15], v[34:35] op_sel:[1,0] neg_lo:[0,1] neg_hi:[0,1]
	v_mov_b32_e32 v40, v26
	v_mov_b32_e32 v41, v0
	;; [unrolled: 1-line block ×4, first 2 shown]
	v_pk_add_f32 v[14:15], v[14:15], v[22:23] neg_lo:[0,1] neg_hi:[0,1]
	v_sub_f32_e32 v11, v24, v25
	v_mov_b32_e32 v39, v35
	v_pk_add_f32 v[24:25], v[40:41], v[42:43] neg_lo:[0,1] neg_hi:[0,1]
	v_mul_f32_e32 v23, 0x3f737871, v14
	v_mov_b32_e32 v22, v27
	v_mul_f32_e32 v37, 0x3f167918, v11
	v_mov_b32_e32 v36, v1
	v_add_f32_e32 v20, v24, v25
	v_pk_add_f32 v[22:23], v[38:39], v[22:23]
	v_mul_f32_e32 v1, 0x3e9e377a, v20
	v_pk_add_f32 v[22:23], v[22:23], v[36:37]
	s_mov_b32 s4, s5
	v_mul_f32_e32 v25, 0x3f737871, v11
	v_pk_add_f32 v[36:37], v[22:23], v[0:1]
	v_mov_b32_e32 v24, 0x3f167918
	v_pk_mul_f32 v[22:23], v[14:15], s[4:5]
	v_fmamk_f32 v0, v11, 0xbf737871, v15
	v_pk_add_f32 v[26:27], v[14:15], v[24:25]
	v_mov_b32_e32 v1, v22
	v_fmac_f32_e32 v35, 0xbf737871, v14
	v_pk_fma_f32 v[14:15], v[14:15], v[24:25], v[0:1]
	v_pk_add_f32 v[0:1], v[26:27], v[0:1] neg_lo:[0,1] neg_hi:[0,1]
	v_lshlrev_b32_e32 v28, 2, v32
	v_lshlrev_b32_e32 v0, 2, v30
	v_pk_add_f32 v[6:7], v[42:43], v[40:41] neg_lo:[0,1] neg_hi:[0,1]
	v_add3_u32 v22, 0, v28, v0
	v_lshlrev_b32_e32 v0, 4, v30
	v_add_f32_e32 v6, v6, v7
	v_sub_u32_e32 v0, v33, v0
	v_mul_f32_e32 v6, 0x3e9e377a, v6
	v_mov_b32_e32 v15, v1
	v_add_u32_e32 v23, v0, v28
	v_pk_add_f32 v[38:39], v[6:7], v[14:15] op_sel_hi:[0,1]
	s_waitcnt lgkmcnt(0)
	; wave barrier
	s_waitcnt lgkmcnt(0)
	ds_read2_b32 v[0:1], v23 offset0:30 offset1:40
	ds_read2_b32 v[6:7], v23 offset0:10 offset1:20
	;; [unrolled: 1-line block ×3, first 2 shown]
	ds_read_b32 v27, v22
	ds_read_b32 v26, v23 offset:280
	v_fmac_f32_e32 v35, 0xbf167918, v11
	v_add_u32_e32 v34, 10, v30
	v_fmac_f32_e32 v35, 0x3e9e377a, v20
	s_waitcnt lgkmcnt(0)
	; wave barrier
	s_waitcnt lgkmcnt(0)
	ds_write2_b32 v29, v36, v37 offset1:1
	ds_write2_b32 v29, v38, v39 offset0:2 offset1:3
	ds_write_b32 v29, v35 offset:16
	s_and_saveexec_b64 s[4:5], s[0:1]
	s_cbranch_execz .LBB0_18
; %bb.17:
	v_add_f32_e32 v11, v16, v10
	v_mul_f32_e32 v33, 0.5, v11
	v_mov_b32_e32 v32, v21
	v_mov_b32_e32 v20, v13
	v_pk_add_f32 v[36:37], v[8:9], v[32:33] op_sel:[1,0]
	v_pk_add_f32 v[32:33], v[8:9], v[32:33] op_sel:[1,0] neg_lo:[0,1] neg_hi:[0,1]
	v_pk_add_f32 v[38:39], v[20:21], v[16:17] neg_lo:[0,1] neg_hi:[0,1]
	v_add_f32_e32 v11, v21, v13
	v_sub_f32_e32 v29, v19, v18
	v_mov_b32_e32 v18, v16
	v_add_f32_e32 v32, v38, v39
	v_mov_b32_e32 v38, v13
	v_mul_f32_e32 v13, 0.5, v11
	v_pk_add_f32 v[16:17], v[16:17], v[20:21] neg_lo:[0,1] neg_hi:[0,1]
	v_pk_add_f32 v[8:9], v[8:9], v[12:13] neg_lo:[0,1] neg_hi:[0,1]
	v_add_f32_e32 v11, v16, v17
	v_mov_b32_e32 v37, v33
	v_mul_f32_e32 v16, 0x3e9e377a, v11
	v_mul_f32_e32 v11, 0x3f737871, v8
	s_mov_b32 s0, 0x3f167918
	v_mul_f32_e32 v19, 0x3f167918, v29
	v_pk_add_f32 v[10:11], v[36:37], v[10:11]
	v_mul_f32_e32 v25, 0x3f737871, v29
	v_pk_add_f32 v[10:11], v[18:19], v[10:11]
	v_pk_mul_f32 v[18:19], v[8:9], s[0:1]
	v_fmamk_f32 v12, v29, 0xbf737871, v9
	v_pk_add_f32 v[20:21], v[8:9], v[24:25]
	v_mov_b32_e32 v13, v18
	v_fmac_f32_e32 v33, 0xbf737871, v8
	v_pk_fma_f32 v[8:9], v[8:9], v[24:25], v[12:13]
	v_pk_add_f32 v[12:13], v[20:21], v[12:13] neg_lo:[0,1] neg_hi:[0,1]
	v_mul_f32_e32 v39, 0x3e9e377a, v32
	v_mul_u32_u24_e32 v12, 20, v34
	v_pk_add_f32 v[10:11], v[38:39], v[10:11]
	v_fmac_f32_e32 v33, 0xbf167918, v29
	v_mov_b32_e32 v9, v13
	v_add3_u32 v12, 0, v12, v28
	v_fmac_f32_e32 v33, 0x3e9e377a, v32
	v_pk_add_f32 v[8:9], v[16:17], v[8:9] op_sel_hi:[0,1]
	ds_write2_b32 v12, v10, v11 offset1:1
	ds_write2_b32 v12, v8, v9 offset0:2 offset1:3
	ds_write_b32 v12, v33 offset:16
.LBB0_18:
	s_or_b64 exec, exec, s[4:5]
	v_add_u32_e32 v8, -5, v30
	v_cmp_gt_u32_e64 s[0:1], 5, v30
	v_mov_b32_e32 v9, 0
	v_add_u16_e32 v13, 20, v30
	v_cndmask_b32_e64 v8, v8, v30, s[0:1]
	s_movk_i32 s0, 0xcd
	v_lshl_add_u64 v[10:11], v[8:9], 3, s[8:9]
	v_mul_lo_u16_sdwa v9, v34, s0 dst_sel:DWORD dst_unused:UNUSED_PAD src0_sel:BYTE_0 src1_sel:DWORD
	v_lshrrev_b16_e32 v9, 10, v9
	v_mul_lo_u16_e32 v12, 5, v9
	v_mul_lo_u16_sdwa v16, v13, s0 dst_sel:DWORD dst_unused:UNUSED_PAD src0_sel:BYTE_0 src1_sel:DWORD
	v_sub_u16_e32 v29, v34, v12
	v_lshrrev_b16_e32 v34, 10, v16
	v_mul_lo_u16_e32 v16, 5, v34
	v_add_u16_e32 v17, 30, v30
	v_sub_u16_e32 v35, v13, v16
	v_mul_lo_u16_sdwa v13, v17, s0 dst_sel:DWORD dst_unused:UNUSED_PAD src0_sel:BYTE_0 src1_sel:DWORD
	v_lshrrev_b16_e32 v36, 10, v13
	v_mul_lo_u16_e32 v19, 5, v36
	s_waitcnt lgkmcnt(0)
	; wave barrier
	s_waitcnt lgkmcnt(0)
	v_mov_b32_e32 v18, 3
	global_load_dwordx2 v[10:11], v[10:11], off
	v_sub_u16_e32 v37, v17, v19
	v_lshlrev_b32_sdwa v12, v18, v29 dst_sel:DWORD dst_unused:UNUSED_PAD src0_sel:DWORD src1_sel:BYTE_0
	v_lshlrev_b32_sdwa v16, v18, v35 dst_sel:DWORD dst_unused:UNUSED_PAD src0_sel:DWORD src1_sel:BYTE_0
	;; [unrolled: 1-line block ×3, first 2 shown]
	global_load_dwordx2 v[18:19], v18, s[8:9]
	v_cmp_lt_u32_e64 s[0:1], 4, v30
	global_load_dwordx2 v[12:13], v12, s[8:9]
	v_mov_b32_e32 v41, 2
	global_load_dwordx2 v[16:17], v16, s[8:9]
	ds_read2_b32 v[20:21], v23 offset0:30 offset1:40
	ds_read2_b32 v[24:25], v23 offset0:50 offset1:60
	;; [unrolled: 1-line block ×3, first 2 shown]
	ds_read_b32 v38, v22
	ds_read_b32 v39, v23 offset:280
	v_cndmask_b32_e64 v40, 0, 40, s[0:1]
	v_add_u32_e32 v40, 0, v40
	v_lshlrev_b32_e32 v8, 2, v8
	v_add3_u32 v40, v40, v8, v28
	v_mad_u32_u24 v8, v9, 40, 0
	v_lshlrev_b32_sdwa v29, v41, v29 dst_sel:DWORD dst_unused:UNUSED_PAD src0_sel:DWORD src1_sel:BYTE_0
	v_mad_u32_u24 v9, v34, 40, 0
	v_lshlrev_b32_sdwa v35, v41, v35 dst_sel:DWORD dst_unused:UNUSED_PAD src0_sel:DWORD src1_sel:BYTE_0
	v_add3_u32 v29, v8, v29, v28
	v_add3_u32 v35, v9, v35, v28
	s_waitcnt lgkmcnt(0)
	; wave barrier
	s_waitcnt lgkmcnt(0)
	v_mad_u32_u24 v34, v36, 40, 0
	v_lshlrev_b32_sdwa v36, v41, v37 dst_sel:DWORD dst_unused:UNUSED_PAD src0_sel:DWORD src1_sel:BYTE_0
	v_add3_u32 v28, v34, v36, v28
	s_waitcnt vmcnt(3)
	v_mul_f32_e32 v8, v21, v11
	v_mul_f32_e32 v9, v1, v11
	v_fmac_f32_e32 v8, v1, v10
	v_fma_f32 v1, v21, v10, -v9
	v_sub_f32_e32 v8, v27, v8
	v_fma_f32 v21, v27, 2.0, -v8
	ds_write2_b32 v40, v21, v8 offset1:5
	s_waitcnt vmcnt(1)
	v_mul_f32_e32 v9, v24, v13
	v_mul_f32_e32 v10, v14, v13
	s_waitcnt vmcnt(0)
	v_mul_f32_e32 v11, v25, v17
	v_mul_f32_e32 v13, v15, v17
	;; [unrolled: 1-line block ×3, first 2 shown]
	v_fmac_f32_e32 v9, v14, v12
	v_fma_f32 v10, v24, v12, -v10
	v_fmac_f32_e32 v11, v15, v16
	v_fmac_f32_e32 v17, v26, v18
	v_mul_f32_e32 v19, v26, v19
	v_sub_f32_e32 v8, v6, v9
	v_sub_f32_e32 v14, v32, v10
	;; [unrolled: 1-line block ×4, first 2 shown]
	v_fma_f32 v12, v25, v16, -v13
	v_fma_f32 v13, v39, v18, -v19
	v_fma_f32 v6, v6, 2.0, -v8
	v_fma_f32 v7, v7, 2.0, -v9
	v_fma_f32 v0, v0, 2.0, -v10
	v_sub_f32_e32 v11, v33, v12
	v_sub_f32_e32 v15, v20, v13
	ds_write2_b32 v29, v6, v8 offset1:5
	ds_write2_b32 v35, v7, v9 offset1:5
	;; [unrolled: 1-line block ×3, first 2 shown]
	s_waitcnt lgkmcnt(0)
	; wave barrier
	s_waitcnt lgkmcnt(0)
	ds_read2_b32 v[6:7], v23 offset0:10 offset1:20
	ds_read2_b32 v[8:9], v23 offset0:30 offset1:40
	;; [unrolled: 1-line block ×3, first 2 shown]
	ds_read_b32 v0, v22
	ds_read_b32 v10, v23 offset:280
	v_sub_f32_e32 v1, v38, v1
	v_fma_f32 v27, v38, 2.0, -v1
	v_fma_f32 v16, v32, 2.0, -v14
	;; [unrolled: 1-line block ×4, first 2 shown]
	s_waitcnt lgkmcnt(0)
	; wave barrier
	s_waitcnt lgkmcnt(0)
	ds_write2_b32 v40, v27, v1 offset1:5
	ds_write2_b32 v29, v16, v14 offset1:5
	;; [unrolled: 1-line block ×4, first 2 shown]
	s_waitcnt lgkmcnt(0)
	; wave barrier
	s_waitcnt lgkmcnt(0)
	s_and_saveexec_b64 s[0:1], vcc
	s_cbranch_execz .LBB0_20
; %bb.19:
	v_mul_u32_u24_e32 v1, 7, v30
	v_lshlrev_b32_e32 v1, 3, v1
	global_load_dwordx4 v[14:17], v1, s[8:9] offset:72
	global_load_dwordx4 v[18:21], v1, s[8:9] offset:40
	;; [unrolled: 1-line block ×3, first 2 shown]
	global_load_dwordx2 v[32:33], v1, s[8:9] offset:88
	v_mul_lo_u32 v11, s3, v4
	v_mul_lo_u32 v28, s2, v5
	v_mad_u64_u32 v[4:5], s[0:1], s2, v4, 0
	v_mad_u64_u32 v[38:39], s[0:1], s16, v31, 0
	v_add3_u32 v5, v5, v28, v11
	v_mov_b32_e32 v30, v39
	v_mad_u64_u32 v[40:41], s[0:1], s17, v31, v[30:31]
	v_lshl_add_u64 v[4:5], v[4:5], 3, s[6:7]
	v_mov_b32_e32 v39, v40
	v_lshl_add_u64 v[2:3], v[2:3], 3, v[4:5]
	v_add_u32_e32 v11, 10, v31
	v_lshl_add_u64 v[4:5], v[38:39], 3, v[2:3]
	v_mad_u64_u32 v[38:39], s[0:1], s16, v11, 0
	v_mov_b32_e32 v30, v39
	v_mad_u64_u32 v[40:41], s[0:1], s17, v11, v[30:31]
	v_add_u32_e32 v11, 20, v31
	v_mov_b32_e32 v39, v40
	v_mad_u64_u32 v[40:41], s[0:1], s16, v11, 0
	v_mov_b32_e32 v30, v41
	v_mad_u64_u32 v[42:43], s[0:1], s17, v11, v[30:31]
	v_add_u32_e32 v11, 30, v31
	v_mov_b32_e32 v41, v42
	;; [unrolled: 5-line block ×5, first 2 shown]
	v_mad_u64_u32 v[48:49], s[0:1], s16, v11, 0
	v_mov_b32_e32 v30, v49
	ds_read2_b32 v[28:29], v23 offset0:30 offset1:40
	v_mad_u64_u32 v[50:51], s[0:1], s17, v11, v[30:31]
	v_add_u32_e32 v11, 0x46, v31
	v_mad_u64_u32 v[30:31], s[0:1], s16, v11, 0
	ds_read2_b32 v[34:35], v23 offset0:10 offset1:20
	ds_read2_b32 v[36:37], v23 offset0:50 offset1:60
	ds_read_b32 v1, v22
	ds_read_b32 v22, v23 offset:280
	v_mov_b32_e32 v49, v50
	v_mov_b32_e32 v50, v31
	v_mad_u64_u32 v[50:51], s[0:1], s17, v11, v[50:51]
	v_mov_b32_e32 v31, v50
	v_mov_b32_e32 v52, v13
	;; [unrolled: 1-line block ×3, first 2 shown]
	v_lshl_add_u64 v[38:39], v[38:39], 3, v[2:3]
	v_lshl_add_u64 v[40:41], v[40:41], 3, v[2:3]
	;; [unrolled: 1-line block ×7, first 2 shown]
	s_waitcnt lgkmcnt(2)
	v_mov_b32_e32 v30, v37
	v_mov_b32_e32 v31, v29
	s_waitcnt vmcnt(3)
	v_mov_b32_e32 v50, v16
	v_mov_b32_e32 v23, v36
	s_waitcnt vmcnt(1)
	v_mov_b32_e32 v51, v26
	v_mov_b32_e32 v26, v17
	v_pk_mul_f32 v[16:17], v[52:53], v[26:27]
	s_waitcnt vmcnt(0)
	v_mov_b32_e32 v36, v32
	v_pk_fma_f32 v[16:17], v[30:31], v[50:51], v[16:17] neg_lo:[0,0,1] neg_hi:[0,0,1]
	v_pk_mul_f32 v[50:51], v[52:53], v[50:51]
	v_mov_b32_e32 v37, v14
	v_mov_b32_e32 v11, v12
	;; [unrolled: 1-line block ×3, first 2 shown]
	v_pk_fma_f32 v[26:27], v[30:31], v[26:27], v[50:51]
	v_mov_b32_e32 v30, v24
	v_mov_b32_e32 v31, v18
	;; [unrolled: 1-line block ×4, first 2 shown]
	v_pk_mul_f32 v[12:13], v[10:11], v[14:15]
	v_pk_mul_f32 v[10:11], v[10:11], v[36:37]
	v_mov_b32_e32 v6, v35
	v_mov_b32_e32 v29, v34
	v_pk_mul_f32 v[24:25], v[8:9], v[18:19]
	s_waitcnt lgkmcnt(0)
	v_pk_fma_f32 v[12:13], v[22:23], v[36:37], v[12:13] neg_lo:[0,0,1] neg_hi:[0,0,1]
	v_pk_mul_f32 v[8:9], v[8:9], v[30:31]
	v_pk_fma_f32 v[10:11], v[22:23], v[14:15], v[10:11]
	v_pk_mul_f32 v[22:23], v[6:7], v[20:21] op_sel_hi:[0,1]
	v_mov_b32_e32 v6, v7
	v_pk_fma_f32 v[24:25], v[28:29], v[30:31], v[24:25] neg_lo:[0,0,1] neg_hi:[0,0,1]
	v_pk_fma_f32 v[8:9], v[28:29], v[18:19], v[8:9]
	v_pk_fma_f32 v[28:29], v[6:7], v[20:21], v[22:23] op_sel:[0,0,1] op_sel_hi:[1,1,0]
	v_pk_fma_f32 v[6:7], v[6:7], v[20:21], v[22:23] op_sel:[0,0,1] op_sel_hi:[0,1,0] neg_lo:[1,0,0] neg_hi:[1,0,0]
	v_mov_b32_e32 v29, v7
	v_mov_b32_e32 v6, v7
	;; [unrolled: 1-line block ×3, first 2 shown]
	v_pk_add_f32 v[6:7], v[6:7], v[16:17] neg_lo:[0,1] neg_hi:[0,1]
	v_mov_b32_e32 v16, v28
	v_mov_b32_e32 v17, v0
	v_pk_add_f32 v[12:13], v[24:25], v[12:13] neg_lo:[0,1] neg_hi:[0,1]
	v_pk_add_f32 v[10:11], v[8:9], v[10:11] neg_lo:[0,1] neg_hi:[0,1]
	v_pk_add_f32 v[16:17], v[16:17], v[26:27] neg_lo:[0,1] neg_hi:[0,1]
	v_pk_add_f32 v[14:15], v[12:13], v[10:11] op_sel:[0,1] op_sel_hi:[1,0]
	v_pk_add_f32 v[18:19], v[12:13], v[10:11] op_sel:[0,1] op_sel_hi:[1,0] neg_lo:[0,1] neg_hi:[0,1]
	v_pk_add_f32 v[20:21], v[6:7], v[16:17] op_sel:[0,1] op_sel_hi:[1,0]
	v_pk_add_f32 v[22:23], v[6:7], v[16:17] op_sel:[0,1] op_sel_hi:[1,0] neg_lo:[0,1] neg_hi:[0,1]
	v_mov_b32_e32 v15, v19
	s_mov_b32 s0, 0x3f3504f3
	v_mov_b32_e32 v21, v23
	v_pk_mul_f32 v[18:19], v[14:15], s[0:1] op_sel_hi:[1,0]
	v_pk_fma_f32 v[22:23], v[14:15], s[0:1], v[20:21] op_sel_hi:[1,0,1]
	s_nop 0
	v_pk_add_f32 v[26:27], v[22:23], v[18:19] op_sel:[0,1] op_sel_hi:[1,0]
	v_pk_add_f32 v[18:19], v[22:23], v[18:19] op_sel:[0,1] op_sel_hi:[1,0] neg_lo:[0,1] neg_hi:[0,1]
	v_mov_b32_e32 v22, v13
	v_mov_b32_e32 v18, v17
	v_mov_b32_e32 v17, v6
	v_mov_b32_e32 v27, v19
	v_mov_b32_e32 v19, v7
	v_pk_fma_f32 v[6:7], v[28:29], 2.0, v[16:17] op_sel_hi:[1,0,1] neg_lo:[0,0,1] neg_hi:[0,0,1]
	v_mov_b32_e32 v16, v25
	v_mov_b32_e32 v17, v9
	;; [unrolled: 1-line block ×6, first 2 shown]
	v_pk_fma_f32 v[0:1], v[0:1], 2.0, v[18:19] op_sel_hi:[1,0,1] neg_lo:[0,0,1] neg_hi:[0,0,1]
	v_pk_fma_f32 v[16:17], v[16:17], 2.0, v[22:23] op_sel_hi:[1,0,1] neg_lo:[0,0,1] neg_hi:[0,0,1]
	;; [unrolled: 1-line block ×3, first 2 shown]
	v_mov_b32_e32 v12, v11
	v_pk_add_f32 v[6:7], v[0:1], v[6:7] neg_lo:[0,1] neg_hi:[0,1]
	v_pk_add_f32 v[8:9], v[16:17], v[8:9] neg_lo:[0,1] neg_hi:[0,1]
	v_pk_fma_f32 v[10:11], v[12:13], 2.0, v[14:15] op_sel_hi:[1,0,1] neg_lo:[0,0,1] neg_hi:[0,0,1]
	v_pk_fma_f32 v[14:15], v[18:19], 2.0, v[20:21] op_sel_hi:[1,0,1] neg_lo:[0,0,1] neg_hi:[0,0,1]
	v_pk_add_f32 v[22:23], v[6:7], v[8:9]
	v_pk_add_f32 v[24:25], v[6:7], v[8:9] neg_lo:[0,1] neg_hi:[0,1]
	v_pk_mul_f32 v[12:13], v[10:11], s[0:1] op_sel_hi:[1,0]
	v_pk_fma_f32 v[10:11], v[10:11], s[0:1], v[14:15] op_sel_hi:[1,0,1] neg_lo:[1,0,0] neg_hi:[1,0,0]
	v_pk_fma_f32 v[0:1], v[0:1], 2.0, v[6:7] op_sel_hi:[1,0,1] neg_lo:[0,0,1] neg_hi:[0,0,1]
	v_pk_fma_f32 v[8:9], v[16:17], 2.0, v[8:9] op_sel_hi:[1,0,1] neg_lo:[0,0,1] neg_hi:[0,0,1]
	v_pk_add_f32 v[18:19], v[10:11], v[12:13] op_sel:[0,1] op_sel_hi:[1,0]
	v_pk_add_f32 v[10:11], v[10:11], v[12:13] op_sel:[0,1] op_sel_hi:[1,0] neg_lo:[0,1] neg_hi:[0,1]
	v_pk_add_f32 v[8:9], v[0:1], v[8:9] op_sel:[0,1] op_sel_hi:[1,0] neg_lo:[0,1] neg_hi:[0,1]
	v_mov_b32_e32 v19, v11
	v_pk_fma_f32 v[0:1], v[0:1], 2.0, v[8:9] op_sel_hi:[1,0,1] neg_lo:[0,0,1] neg_hi:[0,0,1]
	v_mov_b32_e32 v23, v25
	global_store_dwordx2 v[4:5], v[0:1], off
	v_pk_fma_f32 v[0:1], v[14:15], 2.0, v[18:19] op_sel_hi:[1,0,1] neg_lo:[0,0,1] neg_hi:[0,0,1]
	global_store_dwordx2 v[38:39], v[0:1], off
	v_pk_fma_f32 v[0:1], v[6:7], 2.0, v[22:23] op_sel_hi:[1,0,1] neg_lo:[0,0,1] neg_hi:[0,0,1]
	;; [unrolled: 2-line block ×3, first 2 shown]
	global_store_dwordx2 v[42:43], v[0:1], off
	global_store_dwordx2 v[44:45], v[8:9], off
	;; [unrolled: 1-line block ×5, first 2 shown]
.LBB0_20:
	s_endpgm
	.section	.rodata,"a",@progbits
	.p2align	6, 0x0
	.amdhsa_kernel fft_rtc_back_len80_factors_5_2_8_wgs_60_tpt_10_halfLds_sp_op_CI_CI_sbrr_dirReg
		.amdhsa_group_segment_fixed_size 0
		.amdhsa_private_segment_fixed_size 0
		.amdhsa_kernarg_size 104
		.amdhsa_user_sgpr_count 2
		.amdhsa_user_sgpr_dispatch_ptr 0
		.amdhsa_user_sgpr_queue_ptr 0
		.amdhsa_user_sgpr_kernarg_segment_ptr 1
		.amdhsa_user_sgpr_dispatch_id 0
		.amdhsa_user_sgpr_kernarg_preload_length 0
		.amdhsa_user_sgpr_kernarg_preload_offset 0
		.amdhsa_user_sgpr_private_segment_size 0
		.amdhsa_uses_dynamic_stack 0
		.amdhsa_enable_private_segment 0
		.amdhsa_system_sgpr_workgroup_id_x 1
		.amdhsa_system_sgpr_workgroup_id_y 0
		.amdhsa_system_sgpr_workgroup_id_z 0
		.amdhsa_system_sgpr_workgroup_info 0
		.amdhsa_system_vgpr_workitem_id 0
		.amdhsa_next_free_vgpr 54
		.amdhsa_next_free_sgpr 32
		.amdhsa_accum_offset 56
		.amdhsa_reserve_vcc 1
		.amdhsa_float_round_mode_32 0
		.amdhsa_float_round_mode_16_64 0
		.amdhsa_float_denorm_mode_32 3
		.amdhsa_float_denorm_mode_16_64 3
		.amdhsa_dx10_clamp 1
		.amdhsa_ieee_mode 1
		.amdhsa_fp16_overflow 0
		.amdhsa_tg_split 0
		.amdhsa_exception_fp_ieee_invalid_op 0
		.amdhsa_exception_fp_denorm_src 0
		.amdhsa_exception_fp_ieee_div_zero 0
		.amdhsa_exception_fp_ieee_overflow 0
		.amdhsa_exception_fp_ieee_underflow 0
		.amdhsa_exception_fp_ieee_inexact 0
		.amdhsa_exception_int_div_zero 0
	.end_amdhsa_kernel
	.text
.Lfunc_end0:
	.size	fft_rtc_back_len80_factors_5_2_8_wgs_60_tpt_10_halfLds_sp_op_CI_CI_sbrr_dirReg, .Lfunc_end0-fft_rtc_back_len80_factors_5_2_8_wgs_60_tpt_10_halfLds_sp_op_CI_CI_sbrr_dirReg
                                        ; -- End function
	.section	.AMDGPU.csdata,"",@progbits
; Kernel info:
; codeLenInByte = 4888
; NumSgprs: 38
; NumVgprs: 54
; NumAgprs: 0
; TotalNumVgprs: 54
; ScratchSize: 0
; MemoryBound: 0
; FloatMode: 240
; IeeeMode: 1
; LDSByteSize: 0 bytes/workgroup (compile time only)
; SGPRBlocks: 4
; VGPRBlocks: 6
; NumSGPRsForWavesPerEU: 38
; NumVGPRsForWavesPerEU: 54
; AccumOffset: 56
; Occupancy: 8
; WaveLimiterHint : 1
; COMPUTE_PGM_RSRC2:SCRATCH_EN: 0
; COMPUTE_PGM_RSRC2:USER_SGPR: 2
; COMPUTE_PGM_RSRC2:TRAP_HANDLER: 0
; COMPUTE_PGM_RSRC2:TGID_X_EN: 1
; COMPUTE_PGM_RSRC2:TGID_Y_EN: 0
; COMPUTE_PGM_RSRC2:TGID_Z_EN: 0
; COMPUTE_PGM_RSRC2:TIDIG_COMP_CNT: 0
; COMPUTE_PGM_RSRC3_GFX90A:ACCUM_OFFSET: 13
; COMPUTE_PGM_RSRC3_GFX90A:TG_SPLIT: 0
	.text
	.p2alignl 6, 3212836864
	.fill 256, 4, 3212836864
	.type	__hip_cuid_60ea8e79ad381e6f,@object ; @__hip_cuid_60ea8e79ad381e6f
	.section	.bss,"aw",@nobits
	.globl	__hip_cuid_60ea8e79ad381e6f
__hip_cuid_60ea8e79ad381e6f:
	.byte	0                               ; 0x0
	.size	__hip_cuid_60ea8e79ad381e6f, 1

	.ident	"AMD clang version 19.0.0git (https://github.com/RadeonOpenCompute/llvm-project roc-6.4.0 25133 c7fe45cf4b819c5991fe208aaa96edf142730f1d)"
	.section	".note.GNU-stack","",@progbits
	.addrsig
	.addrsig_sym __hip_cuid_60ea8e79ad381e6f
	.amdgpu_metadata
---
amdhsa.kernels:
  - .agpr_count:     0
    .args:
      - .actual_access:  read_only
        .address_space:  global
        .offset:         0
        .size:           8
        .value_kind:     global_buffer
      - .offset:         8
        .size:           8
        .value_kind:     by_value
      - .actual_access:  read_only
        .address_space:  global
        .offset:         16
        .size:           8
        .value_kind:     global_buffer
      - .actual_access:  read_only
        .address_space:  global
        .offset:         24
        .size:           8
        .value_kind:     global_buffer
      - .actual_access:  read_only
        .address_space:  global
        .offset:         32
        .size:           8
        .value_kind:     global_buffer
      - .offset:         40
        .size:           8
        .value_kind:     by_value
      - .actual_access:  read_only
        .address_space:  global
        .offset:         48
        .size:           8
        .value_kind:     global_buffer
      - .actual_access:  read_only
        .address_space:  global
        .offset:         56
        .size:           8
        .value_kind:     global_buffer
      - .offset:         64
        .size:           4
        .value_kind:     by_value
      - .actual_access:  read_only
        .address_space:  global
        .offset:         72
        .size:           8
        .value_kind:     global_buffer
      - .actual_access:  read_only
        .address_space:  global
        .offset:         80
        .size:           8
        .value_kind:     global_buffer
      - .actual_access:  read_only
        .address_space:  global
        .offset:         88
        .size:           8
        .value_kind:     global_buffer
      - .actual_access:  write_only
        .address_space:  global
        .offset:         96
        .size:           8
        .value_kind:     global_buffer
    .group_segment_fixed_size: 0
    .kernarg_segment_align: 8
    .kernarg_segment_size: 104
    .language:       OpenCL C
    .language_version:
      - 2
      - 0
    .max_flat_workgroup_size: 60
    .name:           fft_rtc_back_len80_factors_5_2_8_wgs_60_tpt_10_halfLds_sp_op_CI_CI_sbrr_dirReg
    .private_segment_fixed_size: 0
    .sgpr_count:     38
    .sgpr_spill_count: 0
    .symbol:         fft_rtc_back_len80_factors_5_2_8_wgs_60_tpt_10_halfLds_sp_op_CI_CI_sbrr_dirReg.kd
    .uniform_work_group_size: 1
    .uses_dynamic_stack: false
    .vgpr_count:     54
    .vgpr_spill_count: 0
    .wavefront_size: 64
amdhsa.target:   amdgcn-amd-amdhsa--gfx950
amdhsa.version:
  - 1
  - 2
...

	.end_amdgpu_metadata
